;; amdgpu-corpus repo=ROCm/rocFFT kind=compiled arch=gfx1030 opt=O3
	.text
	.amdgcn_target "amdgcn-amd-amdhsa--gfx1030"
	.amdhsa_code_object_version 6
	.protected	fft_rtc_fwd_len224_factors_7_2_2_2_2_2_wgs_64_tpt_16_halfLds_sp_op_CI_CI_sbrr_dirReg ; -- Begin function fft_rtc_fwd_len224_factors_7_2_2_2_2_2_wgs_64_tpt_16_halfLds_sp_op_CI_CI_sbrr_dirReg
	.globl	fft_rtc_fwd_len224_factors_7_2_2_2_2_2_wgs_64_tpt_16_halfLds_sp_op_CI_CI_sbrr_dirReg
	.p2align	8
	.type	fft_rtc_fwd_len224_factors_7_2_2_2_2_2_wgs_64_tpt_16_halfLds_sp_op_CI_CI_sbrr_dirReg,@function
fft_rtc_fwd_len224_factors_7_2_2_2_2_2_wgs_64_tpt_16_halfLds_sp_op_CI_CI_sbrr_dirReg: ; @fft_rtc_fwd_len224_factors_7_2_2_2_2_2_wgs_64_tpt_16_halfLds_sp_op_CI_CI_sbrr_dirReg
; %bb.0:
	s_clause 0x2
	s_load_dwordx4 s[16:19], s[4:5], 0x18
	s_load_dwordx4 s[12:15], s[4:5], 0x0
	;; [unrolled: 1-line block ×3, first 2 shown]
	v_lshrrev_b32_e32 v10, 4, v0
	v_mov_b32_e32 v3, 0
	v_mov_b32_e32 v18, 0
	;; [unrolled: 1-line block ×3, first 2 shown]
	s_waitcnt lgkmcnt(0)
	s_load_dwordx2 s[20:21], s[16:17], 0x0
	s_load_dwordx2 s[2:3], s[18:19], 0x0
	v_cmp_lt_u64_e64 s0, s[14:15], 2
	v_lshl_or_b32 v7, s6, 2, v10
	v_mov_b32_e32 v8, v3
	s_and_b32 vcc_lo, exec_lo, s0
	s_cbranch_vccnz .LBB0_8
; %bb.1:
	s_load_dwordx2 s[0:1], s[4:5], 0x10
	v_mov_b32_e32 v18, 0
	v_mov_b32_e32 v19, 0
	s_add_u32 s6, s18, 8
	s_addc_u32 s7, s19, 0
	v_mov_b32_e32 v1, v18
	s_add_u32 s22, s16, 8
	v_mov_b32_e32 v2, v19
	s_addc_u32 s23, s17, 0
	s_mov_b64 s[26:27], 1
	s_waitcnt lgkmcnt(0)
	s_add_u32 s24, s0, 8
	s_addc_u32 s25, s1, 0
.LBB0_2:                                ; =>This Inner Loop Header: Depth=1
	s_load_dwordx2 s[28:29], s[24:25], 0x0
                                        ; implicit-def: $vgpr5_vgpr6
	s_mov_b32 s0, exec_lo
	s_waitcnt lgkmcnt(0)
	v_or_b32_e32 v4, s29, v8
	v_cmpx_ne_u64_e32 0, v[3:4]
	s_xor_b32 s1, exec_lo, s0
	s_cbranch_execz .LBB0_4
; %bb.3:                                ;   in Loop: Header=BB0_2 Depth=1
	v_cvt_f32_u32_e32 v4, s28
	v_cvt_f32_u32_e32 v5, s29
	s_sub_u32 s0, 0, s28
	s_subb_u32 s30, 0, s29
	v_fmac_f32_e32 v4, 0x4f800000, v5
	v_rcp_f32_e32 v4, v4
	v_mul_f32_e32 v4, 0x5f7ffffc, v4
	v_mul_f32_e32 v5, 0x2f800000, v4
	v_trunc_f32_e32 v5, v5
	v_fmac_f32_e32 v4, 0xcf800000, v5
	v_cvt_u32_f32_e32 v5, v5
	v_cvt_u32_f32_e32 v4, v4
	v_mul_lo_u32 v6, s0, v5
	v_mul_hi_u32 v9, s0, v4
	v_mul_lo_u32 v11, s30, v4
	v_add_nc_u32_e32 v6, v9, v6
	v_mul_lo_u32 v9, s0, v4
	v_add_nc_u32_e32 v6, v6, v11
	v_mul_hi_u32 v11, v4, v9
	v_mul_lo_u32 v12, v4, v6
	v_mul_hi_u32 v13, v4, v6
	v_mul_hi_u32 v14, v5, v9
	v_mul_lo_u32 v9, v5, v9
	v_mul_hi_u32 v15, v5, v6
	v_mul_lo_u32 v6, v5, v6
	v_add_co_u32 v11, vcc_lo, v11, v12
	v_add_co_ci_u32_e32 v12, vcc_lo, 0, v13, vcc_lo
	v_add_co_u32 v9, vcc_lo, v11, v9
	v_add_co_ci_u32_e32 v9, vcc_lo, v12, v14, vcc_lo
	v_add_co_ci_u32_e32 v11, vcc_lo, 0, v15, vcc_lo
	v_add_co_u32 v6, vcc_lo, v9, v6
	v_add_co_ci_u32_e32 v9, vcc_lo, 0, v11, vcc_lo
	v_add_co_u32 v4, vcc_lo, v4, v6
	v_add_co_ci_u32_e32 v5, vcc_lo, v5, v9, vcc_lo
	v_mul_hi_u32 v6, s0, v4
	v_mul_lo_u32 v11, s30, v4
	v_mul_lo_u32 v9, s0, v5
	v_add_nc_u32_e32 v6, v6, v9
	v_mul_lo_u32 v9, s0, v4
	v_add_nc_u32_e32 v6, v6, v11
	v_mul_hi_u32 v11, v4, v9
	v_mul_lo_u32 v12, v4, v6
	v_mul_hi_u32 v13, v4, v6
	v_mul_hi_u32 v14, v5, v9
	v_mul_lo_u32 v9, v5, v9
	v_mul_hi_u32 v15, v5, v6
	v_mul_lo_u32 v6, v5, v6
	v_add_co_u32 v11, vcc_lo, v11, v12
	v_add_co_ci_u32_e32 v12, vcc_lo, 0, v13, vcc_lo
	v_add_co_u32 v9, vcc_lo, v11, v9
	v_add_co_ci_u32_e32 v9, vcc_lo, v12, v14, vcc_lo
	v_add_co_ci_u32_e32 v11, vcc_lo, 0, v15, vcc_lo
	v_add_co_u32 v6, vcc_lo, v9, v6
	v_add_co_ci_u32_e32 v9, vcc_lo, 0, v11, vcc_lo
	v_add_co_u32 v6, vcc_lo, v4, v6
	v_add_co_ci_u32_e32 v9, vcc_lo, v5, v9, vcc_lo
	v_mul_hi_u32 v15, v7, v6
	v_mad_u64_u32 v[11:12], null, v8, v6, 0
	v_mad_u64_u32 v[4:5], null, v7, v9, 0
	v_mad_u64_u32 v[13:14], null, v8, v9, 0
	v_add_co_u32 v4, vcc_lo, v15, v4
	v_add_co_ci_u32_e32 v5, vcc_lo, 0, v5, vcc_lo
	v_add_co_u32 v4, vcc_lo, v4, v11
	v_add_co_ci_u32_e32 v4, vcc_lo, v5, v12, vcc_lo
	v_add_co_ci_u32_e32 v5, vcc_lo, 0, v14, vcc_lo
	v_add_co_u32 v9, vcc_lo, v4, v13
	v_add_co_ci_u32_e32 v6, vcc_lo, 0, v5, vcc_lo
	v_mul_lo_u32 v11, s29, v9
	v_mad_u64_u32 v[4:5], null, s28, v9, 0
	v_mul_lo_u32 v12, s28, v6
	v_sub_co_u32 v4, vcc_lo, v7, v4
	v_add3_u32 v5, v5, v12, v11
	v_sub_nc_u32_e32 v11, v8, v5
	v_subrev_co_ci_u32_e64 v11, s0, s29, v11, vcc_lo
	v_add_co_u32 v12, s0, v9, 2
	v_add_co_ci_u32_e64 v13, s0, 0, v6, s0
	v_sub_co_u32 v14, s0, v4, s28
	v_sub_co_ci_u32_e32 v5, vcc_lo, v8, v5, vcc_lo
	v_subrev_co_ci_u32_e64 v11, s0, 0, v11, s0
	v_cmp_le_u32_e32 vcc_lo, s28, v14
	v_cmp_eq_u32_e64 s0, s29, v5
	v_cndmask_b32_e64 v14, 0, -1, vcc_lo
	v_cmp_le_u32_e32 vcc_lo, s29, v11
	v_cndmask_b32_e64 v15, 0, -1, vcc_lo
	v_cmp_le_u32_e32 vcc_lo, s28, v4
	;; [unrolled: 2-line block ×3, first 2 shown]
	v_cndmask_b32_e64 v16, 0, -1, vcc_lo
	v_cmp_eq_u32_e32 vcc_lo, s29, v11
	v_cndmask_b32_e64 v4, v16, v4, s0
	v_cndmask_b32_e32 v11, v15, v14, vcc_lo
	v_add_co_u32 v14, vcc_lo, v9, 1
	v_add_co_ci_u32_e32 v15, vcc_lo, 0, v6, vcc_lo
	v_cmp_ne_u32_e32 vcc_lo, 0, v11
	v_cndmask_b32_e32 v5, v15, v13, vcc_lo
	v_cndmask_b32_e32 v11, v14, v12, vcc_lo
	v_cmp_ne_u32_e32 vcc_lo, 0, v4
	v_cndmask_b32_e32 v6, v6, v5, vcc_lo
	v_cndmask_b32_e32 v5, v9, v11, vcc_lo
.LBB0_4:                                ;   in Loop: Header=BB0_2 Depth=1
	s_andn2_saveexec_b32 s0, s1
	s_cbranch_execz .LBB0_6
; %bb.5:                                ;   in Loop: Header=BB0_2 Depth=1
	v_cvt_f32_u32_e32 v4, s28
	s_sub_i32 s1, 0, s28
	v_rcp_iflag_f32_e32 v4, v4
	v_mul_f32_e32 v4, 0x4f7ffffe, v4
	v_cvt_u32_f32_e32 v4, v4
	v_mul_lo_u32 v5, s1, v4
	v_mul_hi_u32 v5, v4, v5
	v_add_nc_u32_e32 v4, v4, v5
	v_mul_hi_u32 v4, v7, v4
	v_mul_lo_u32 v5, v4, s28
	v_add_nc_u32_e32 v6, 1, v4
	v_sub_nc_u32_e32 v5, v7, v5
	v_subrev_nc_u32_e32 v9, s28, v5
	v_cmp_le_u32_e32 vcc_lo, s28, v5
	v_cndmask_b32_e32 v5, v5, v9, vcc_lo
	v_cndmask_b32_e32 v4, v4, v6, vcc_lo
	v_cmp_le_u32_e32 vcc_lo, s28, v5
	v_add_nc_u32_e32 v6, 1, v4
	v_cndmask_b32_e32 v5, v4, v6, vcc_lo
	v_mov_b32_e32 v6, v3
.LBB0_6:                                ;   in Loop: Header=BB0_2 Depth=1
	s_or_b32 exec_lo, exec_lo, s0
	v_mul_lo_u32 v4, v6, s28
	v_mul_lo_u32 v9, v5, s29
	s_load_dwordx2 s[0:1], s[22:23], 0x0
	v_mad_u64_u32 v[11:12], null, v5, s28, 0
	s_load_dwordx2 s[28:29], s[6:7], 0x0
	s_add_u32 s26, s26, 1
	s_addc_u32 s27, s27, 0
	s_add_u32 s6, s6, 8
	s_addc_u32 s7, s7, 0
	s_add_u32 s22, s22, 8
	v_add3_u32 v4, v12, v9, v4
	v_sub_co_u32 v7, vcc_lo, v7, v11
	s_addc_u32 s23, s23, 0
	s_add_u32 s24, s24, 8
	v_sub_co_ci_u32_e32 v4, vcc_lo, v8, v4, vcc_lo
	s_addc_u32 s25, s25, 0
	s_waitcnt lgkmcnt(0)
	v_mul_lo_u32 v8, s0, v4
	v_mul_lo_u32 v9, s1, v7
	v_mad_u64_u32 v[18:19], null, s0, v7, v[18:19]
	v_mul_lo_u32 v4, s28, v4
	v_mul_lo_u32 v11, s29, v7
	v_mad_u64_u32 v[1:2], null, s28, v7, v[1:2]
	v_cmp_ge_u64_e64 s0, s[26:27], s[14:15]
	v_add3_u32 v19, v9, v19, v8
	v_add3_u32 v2, v11, v2, v4
	s_and_b32 vcc_lo, exec_lo, s0
	s_cbranch_vccnz .LBB0_9
; %bb.7:                                ;   in Loop: Header=BB0_2 Depth=1
	v_mov_b32_e32 v8, v6
	v_mov_b32_e32 v7, v5
	s_branch .LBB0_2
.LBB0_8:
	v_mov_b32_e32 v1, v18
	v_mov_b32_e32 v5, v7
	;; [unrolled: 1-line block ×4, first 2 shown]
.LBB0_9:
	s_load_dwordx2 s[0:1], s[4:5], 0x28
	s_lshl_b64 s[6:7], s[14:15], 3
	v_and_b32_e32 v3, 15, v0
	s_add_u32 s4, s18, s6
	s_addc_u32 s5, s19, s7
                                        ; implicit-def: $sgpr14_sgpr15
                                        ; implicit-def: $vgpr16
                                        ; implicit-def: $vgpr14
                                        ; implicit-def: $vgpr11
                                        ; implicit-def: $vgpr7
                                        ; implicit-def: $vgpr13
                                        ; implicit-def: $vgpr9
	s_waitcnt lgkmcnt(0)
	v_cmp_gt_u64_e32 vcc_lo, s[0:1], v[5:6]
	v_cmp_le_u64_e64 s0, s[0:1], v[5:6]
	s_and_saveexec_b32 s1, s0
	s_xor_b32 s0, exec_lo, s1
; %bb.10:
	v_and_b32_e32 v3, 15, v0
	v_mov_b32_e32 v4, 0
	s_mov_b64 s[14:15], 0
                                        ; implicit-def: $vgpr18_vgpr19
	v_or_b32_e32 v16, 16, v3
	v_or_b32_e32 v14, 32, v3
	;; [unrolled: 1-line block ×6, first 2 shown]
	v_mov_b32_e32 v17, v4
	v_mov_b32_e32 v15, v4
; %bb.11:
	s_or_saveexec_b32 s1, s0
	v_mov_b32_e32 v25, s15
	v_mov_b32_e32 v27, s15
	;; [unrolled: 1-line block ×16, first 2 shown]
                                        ; implicit-def: $vgpr47
                                        ; implicit-def: $vgpr35
                                        ; implicit-def: $vgpr39
                                        ; implicit-def: $vgpr41
                                        ; implicit-def: $vgpr45
                                        ; implicit-def: $vgpr29
	s_xor_b32 exec_lo, exec_lo, s1
	s_cbranch_execz .LBB0_13
; %bb.12:
	s_add_u32 s6, s16, s6
	s_addc_u32 s7, s17, s7
	v_or_b32_e32 v14, 32, v3
	s_load_dwordx2 s[6:7], s[6:7], 0x0
	v_mad_u64_u32 v[11:12], null, s20, v3, 0
	v_or_b32_e32 v7, 64, v3
	v_lshlrev_b64 v[15:16], 3, v[18:19]
	v_or_b32_e32 v9, 0x60, v3
	v_mad_u64_u32 v[17:18], null, s20, v14, 0
	v_mad_u64_u32 v[19:20], null, s20, v7, 0
	;; [unrolled: 1-line block ×3, first 2 shown]
	v_mov_b32_e32 v0, v12
	v_or_b32_e32 v29, 0x80, v3
	v_mov_b32_e32 v4, v18
	v_mad_u64_u32 v[12:13], null, s21, v3, v[0:1]
	v_mov_b32_e32 v0, v20
	s_waitcnt lgkmcnt(0)
	v_mul_lo_u32 v27, s7, v5
	v_mul_lo_u32 v28, s6, v6
	v_mad_u64_u32 v[23:24], null, s6, v5, 0
	v_mov_b32_e32 v8, v22
	v_mad_u64_u32 v[25:26], null, s21, v14, v[4:5]
	v_lshlrev_b64 v[11:12], 3, v[11:12]
	v_or_b32_e32 v13, 0xa0, v3
	v_add3_u32 v24, v24, v28, v27
	v_mad_u64_u32 v[26:27], null, s21, v7, v[0:1]
	v_mov_b32_e32 v18, v25
	v_mad_u64_u32 v[27:28], null, s21, v9, v[8:9]
	v_lshlrev_b64 v[22:23], 3, v[23:24]
	v_mad_u64_u32 v[30:31], null, s20, v13, 0
	v_mov_b32_e32 v20, v26
	v_lshlrev_b64 v[17:18], 3, v[17:18]
	v_add_co_u32 v0, s0, s8, v22
	v_add_co_ci_u32_e64 v4, s0, s9, v23, s0
	v_mov_b32_e32 v22, v27
	v_add_co_u32 v8, s0, v0, v15
	v_add_co_ci_u32_e64 v50, s0, v4, v16, s0
	v_lshlrev_b64 v[15:16], 3, v[19:20]
	v_add_co_u32 v11, s0, v8, v11
	v_add_co_ci_u32_e64 v12, s0, v50, v12, s0
	v_add_co_u32 v17, s0, v8, v17
	v_mad_u64_u32 v[19:20], null, s20, v29, 0
	v_add_co_ci_u32_e64 v18, s0, v50, v18, s0
	v_add_co_u32 v26, s0, v8, v15
	v_add_co_ci_u32_e64 v27, s0, v50, v16, s0
	v_lshlrev_b64 v[15:16], 3, v[21:22]
	v_mov_b32_e32 v0, v20
	v_mov_b32_e32 v4, v31
	v_add_co_u32 v28, s0, v8, v15
	v_or_b32_e32 v15, 0xc0, v3
	v_mad_u64_u32 v[20:21], null, s21, v29, v[0:1]
	v_add_co_ci_u32_e64 v29, s0, v50, v16, s0
	v_or_b32_e32 v16, 16, v3
	v_mad_u64_u32 v[32:33], null, s20, v15, 0
	v_mad_u64_u32 v[21:22], null, s21, v13, v[4:5]
	;; [unrolled: 1-line block ×3, first 2 shown]
	s_clause 0x3
	global_load_dwordx2 v[22:23], v[11:12], off
	global_load_dwordx2 v[24:25], v[17:18], off
	;; [unrolled: 1-line block ×4, first 2 shown]
	v_or_b32_e32 v11, 48, v3
	v_mov_b32_e32 v0, v33
	v_lshlrev_b64 v[12:13], 3, v[19:20]
	v_mov_b32_e32 v31, v21
	v_mov_b32_e32 v4, v35
	v_mad_u64_u32 v[19:20], null, s21, v15, v[0:1]
	v_lshlrev_b64 v[17:18], 3, v[30:31]
	v_mad_u64_u32 v[30:31], null, s20, v11, 0
	v_mad_u64_u32 v[20:21], null, s21, v16, v[4:5]
	v_add_co_u32 v36, s0, v8, v12
	v_mov_b32_e32 v33, v19
	v_add_co_ci_u32_e64 v37, s0, v50, v13, s0
	v_mov_b32_e32 v0, v31
	v_mov_b32_e32 v35, v20
	v_lshlrev_b64 v[19:20], 3, v[32:33]
	v_or_b32_e32 v13, 0x50, v3
	v_add_co_u32 v17, s0, v8, v17
	v_lshlrev_b64 v[31:32], 3, v[34:35]
	v_mad_u64_u32 v[33:34], null, s21, v11, v[0:1]
	v_add_co_ci_u32_e64 v18, s0, v50, v18, s0
	v_mad_u64_u32 v[34:35], null, s20, v13, 0
	v_add_co_u32 v19, s0, v8, v19
	v_or_b32_e32 v4, 0x70, v3
	v_add_co_ci_u32_e64 v20, s0, v50, v20, s0
	v_add_co_u32 v38, s0, v8, v31
	v_add_co_ci_u32_e64 v39, s0, v50, v32, s0
	v_mov_b32_e32 v31, v33
	v_or_b32_e32 v12, 0x90, v3
	v_mad_u64_u32 v[32:33], null, s20, v4, 0
	v_mov_b32_e32 v0, v35
	v_or_b32_e32 v15, 0xb0, v3
	v_mad_u64_u32 v[48:49], null, s20, v12, 0
	s_clause 0x3
	global_load_dwordx2 v[42:43], v[36:37], off
	global_load_dwordx2 v[44:45], v[17:18], off
	;; [unrolled: 1-line block ×4, first 2 shown]
	v_mad_u64_u32 v[40:41], null, s21, v13, v[0:1]
	v_mov_b32_e32 v0, v33
	v_mad_u64_u32 v[36:37], null, s20, v15, 0
	v_lshlrev_b64 v[17:18], 3, v[30:31]
	v_mad_u64_u32 v[30:31], null, s21, v4, v[0:1]
	v_mov_b32_e32 v0, v49
	v_or_b32_e32 v4, 0xd0, v3
	v_mov_b32_e32 v35, v40
	v_add_co_u32 v17, s0, v8, v17
	v_mad_u64_u32 v[38:39], null, s21, v12, v[0:1]
	v_mad_u64_u32 v[39:40], null, s20, v4, 0
	v_mov_b32_e32 v0, v37
	v_mov_b32_e32 v33, v30
	v_lshlrev_b64 v[34:35], 3, v[34:35]
	v_add_co_ci_u32_e64 v18, s0, v50, v18, s0
	v_mad_u64_u32 v[30:31], null, s21, v15, v[0:1]
	v_mov_b32_e32 v0, v40
	v_mov_b32_e32 v49, v38
	v_lshlrev_b64 v[31:32], 3, v[32:33]
	v_add_co_u32 v34, s0, v8, v34
	v_mad_u64_u32 v[40:41], null, s21, v4, v[0:1]
	v_mov_b32_e32 v37, v30
	v_add_co_ci_u32_e64 v35, s0, v50, v35, s0
	v_lshlrev_b64 v[48:49], 3, v[48:49]
	v_add_co_u32 v30, s0, v8, v31
	v_add_co_ci_u32_e64 v31, s0, v50, v32, s0
	v_lshlrev_b64 v[32:33], 3, v[36:37]
	v_add_co_u32 v48, s0, v8, v48
	v_lshlrev_b64 v[36:37], 3, v[39:40]
	v_add_co_ci_u32_e64 v49, s0, v50, v49, s0
	v_add_co_u32 v38, s0, v8, v32
	v_add_co_ci_u32_e64 v39, s0, v50, v33, s0
	v_add_co_u32 v40, s0, v8, v36
	v_add_co_ci_u32_e64 v41, s0, v50, v37, s0
	s_clause 0x5
	global_load_dwordx2 v[36:37], v[17:18], off
	global_load_dwordx2 v[32:33], v[34:35], off
	;; [unrolled: 1-line block ×6, first 2 shown]
	v_mov_b32_e32 v4, 0
	v_mov_b32_e32 v15, v4
	v_mov_b32_e32 v17, v4
.LBB0_13:
	s_or_b32 exec_lo, exec_lo, s1
	v_mul_u32_u24_e32 v0, 0xe0, v10
	s_waitcnt vmcnt(7)
	v_add_f32_e32 v8, v46, v24
	v_add_f32_e32 v10, v47, v25
	v_sub_f32_e32 v12, v24, v46
	v_add_f32_e32 v19, v44, v26
	v_add_f32_e32 v24, v45, v27
	v_sub_f32_e32 v18, v25, v47
	v_sub_f32_e32 v25, v26, v44
	;; [unrolled: 1-line block ×3, first 2 shown]
	v_add_f32_e32 v27, v28, v42
	v_add_f32_e32 v44, v29, v43
	v_sub_f32_e32 v28, v42, v28
	v_sub_f32_e32 v29, v43, v29
	v_add_f32_e32 v42, v8, v19
	v_add_f32_e32 v43, v10, v24
	v_sub_f32_e32 v45, v19, v8
	v_sub_f32_e32 v46, v24, v10
	v_sub_f32_e32 v8, v8, v27
	v_sub_f32_e32 v10, v10, v44
	v_sub_f32_e32 v19, v27, v19
	v_sub_f32_e32 v24, v44, v24
	v_add_f32_e32 v47, v25, v28
	v_add_f32_e32 v48, v26, v29
	v_sub_f32_e32 v49, v28, v25
	v_sub_f32_e32 v50, v29, v26
	;; [unrolled: 1-line block ×3, first 2 shown]
	v_add_f32_e32 v27, v42, v27
	v_add_f32_e32 v42, v43, v44
	v_sub_f32_e32 v28, v12, v28
	v_sub_f32_e32 v29, v18, v29
	;; [unrolled: 1-line block ×3, first 2 shown]
	v_add_f32_e32 v12, v12, v47
	v_add_f32_e32 v18, v18, v48
	;; [unrolled: 1-line block ×4, first 2 shown]
	v_mul_f32_e32 v23, 0x3f4a47b2, v8
	v_mul_f32_e32 v43, 0x3f4a47b2, v10
	;; [unrolled: 1-line block ×8, first 2 shown]
	v_fmamk_f32 v27, v27, 0xbf955555, v22
	v_fmamk_f32 v42, v42, 0xbf955555, v47
	;; [unrolled: 1-line block ×4, first 2 shown]
	v_fma_f32 v19, 0x3f3bfb3b, v45, -v19
	v_fma_f32 v24, 0x3f3bfb3b, v46, -v24
	;; [unrolled: 1-line block ×4, first 2 shown]
	v_fmamk_f32 v45, v28, 0x3eae86e6, v44
	v_fmamk_f32 v46, v29, 0x3eae86e6, v48
	v_fma_f32 v25, 0x3f5ff5aa, v25, -v44
	v_fma_f32 v28, 0xbeae86e6, v28, -v49
	;; [unrolled: 1-line block ×3, first 2 shown]
	v_add_f32_e32 v8, v8, v27
	v_add_f32_e32 v19, v19, v27
	;; [unrolled: 1-line block ×5, first 2 shown]
	v_fmac_f32_e32 v46, 0x3ee1c552, v18
	v_fmac_f32_e32 v25, 0x3ee1c552, v12
	v_fmac_f32_e32 v28, 0x3ee1c552, v12
	v_fma_f32 v26, 0x3f5ff5aa, v26, -v48
	v_add_f32_e32 v10, v10, v42
	v_fmac_f32_e32 v45, 0x3ee1c552, v12
	v_fmac_f32_e32 v29, 0x3ee1c552, v18
	v_add_f32_e32 v12, v8, v46
	v_sub_f32_e32 v50, v27, v28
	v_add_f32_e32 v51, v25, v24
	v_sub_f32_e32 v52, v24, v25
	;; [unrolled: 2-line block ×3, first 2 shown]
	s_waitcnt vmcnt(0)
	v_add_f32_e32 v8, v40, v36
	v_add_f32_e32 v27, v38, v32
	v_fmac_f32_e32 v26, 0x3ee1c552, v18
	v_sub_f32_e32 v48, v10, v45
	v_add_f32_e32 v18, v23, v29
	v_sub_f32_e32 v23, v23, v29
	v_add_f32_e32 v45, v45, v10
	v_add_f32_e32 v10, v41, v37
	;; [unrolled: 1-line block ×3, first 2 shown]
	v_sub_f32_e32 v29, v32, v38
	v_sub_f32_e32 v32, v33, v39
	v_add_f32_e32 v33, v34, v30
	v_sub_f32_e32 v30, v30, v34
	v_add_f32_e32 v34, v8, v27
	;; [unrolled: 2-line block ×3, first 2 shown]
	v_sub_f32_e32 v25, v36, v40
	v_sub_f32_e32 v26, v37, v41
	v_add_f32_e32 v36, v35, v31
	v_sub_f32_e32 v31, v31, v35
	v_add_f32_e32 v35, v10, v28
	v_sub_f32_e32 v37, v27, v8
	v_sub_f32_e32 v8, v8, v33
	;; [unrolled: 1-line block ×3, first 2 shown]
	v_add_f32_e32 v33, v34, v33
	v_sub_f32_e32 v38, v28, v10
	v_sub_f32_e32 v28, v36, v28
	v_add_f32_e32 v39, v29, v30
	v_sub_f32_e32 v41, v30, v29
	v_add_f32_e32 v34, v35, v36
	v_add_f32_e32 v20, v33, v20
	v_mul_f32_e32 v27, 0x3d64c772, v27
	v_sub_f32_e32 v10, v10, v36
	v_add_f32_e32 v40, v32, v31
	v_sub_f32_e32 v43, v31, v32
	v_sub_f32_e32 v30, v25, v30
	;; [unrolled: 1-line block ×4, first 2 shown]
	v_add_f32_e32 v25, v25, v39
	v_add_f32_e32 v35, v34, v21
	v_mul_f32_e32 v21, 0x3f4a47b2, v8
	v_mul_f32_e32 v28, 0x3d64c772, v28
	;; [unrolled: 1-line block ×3, first 2 shown]
	v_fmamk_f32 v33, v33, 0xbf955555, v20
	v_fmamk_f32 v8, v8, 0x3f4a47b2, v27
	v_sub_f32_e32 v31, v26, v31
	v_add_f32_e32 v26, v26, v40
	v_mul_f32_e32 v36, 0x3f4a47b2, v10
	v_mul_f32_e32 v40, 0xbf08b237, v43
	;; [unrolled: 1-line block ×4, first 2 shown]
	v_fmamk_f32 v34, v34, 0xbf955555, v35
	v_fmamk_f32 v10, v10, 0x3f4a47b2, v28
	v_fma_f32 v27, 0x3f3bfb3b, v37, -v27
	v_fma_f32 v21, 0xbf3bfb3b, v37, -v21
	v_fmamk_f32 v37, v30, 0x3eae86e6, v39
	v_fma_f32 v29, 0x3f5ff5aa, v29, -v39
	v_add_f32_e32 v39, v8, v33
	v_lshlrev_b32_e32 v8, 2, v0
	v_fma_f32 v28, 0x3f3bfb3b, v38, -v28
	v_fma_f32 v36, 0xbf3bfb3b, v38, -v36
	v_fmamk_f32 v38, v31, 0x3eae86e6, v40
	v_fma_f32 v32, 0x3f5ff5aa, v32, -v40
	v_fma_f32 v31, 0xbeae86e6, v31, -v43
	v_add_f32_e32 v40, v10, v34
	v_add_nc_u32_e32 v10, 0, v8
	v_fma_f32 v30, 0xbeae86e6, v30, -v41
	v_add_f32_e32 v28, v28, v34
	v_fmac_f32_e32 v38, 0x3ee1c552, v26
	v_fmac_f32_e32 v29, 0x3ee1c552, v25
	v_add_f32_e32 v27, v27, v33
	v_add_f32_e32 v21, v21, v33
	v_fmac_f32_e32 v32, 0x3ee1c552, v26
	v_fmac_f32_e32 v31, 0x3ee1c552, v26
	v_mad_u32_u24 v56, v3, 28, v10
	v_fmac_f32_e32 v37, 0x3ee1c552, v25
	v_fmac_f32_e32 v30, 0x3ee1c552, v25
	v_add_f32_e32 v25, v39, v38
	v_add_f32_e32 v54, v29, v28
	v_sub_f32_e32 v55, v28, v29
	v_sub_f32_e32 v28, v39, v38
	v_mad_i32_i24 v38, v16, 28, v10
	s_load_dwordx2 s[4:5], s[4:5], 0x0
	v_add_f32_e32 v0, v21, v31
	v_sub_f32_e32 v26, v27, v32
	ds_write2_b32 v56, v22, v12 offset1:1
	ds_write2_b32 v56, v18, v42 offset0:2 offset1:3
	ds_write2_b32 v56, v19, v23 offset0:4 offset1:5
	ds_write_b32 v56, v24 offset:24
	ds_write2_b32 v38, v20, v25 offset1:1
	ds_write2_b32 v38, v0, v26 offset0:2 offset1:3
	v_and_b32_e32 v18, 0xff, v3
	v_add_f32_e32 v27, v27, v32
	v_sub_f32_e32 v21, v21, v31
	v_and_b32_e32 v49, 0xff, v16
	v_add_f32_e32 v33, v36, v34
	v_mul_lo_u16 v18, v18, 37
	v_sub_f32_e32 v36, v40, v37
	ds_write2_b32 v38, v27, v21 offset0:4 offset1:5
	v_add_f32_e32 v37, v37, v40
	v_lshlrev_b32_e32 v12, 2, v3
	v_lshrrev_b16 v27, 8, v18
	v_mul_lo_u16 v18, v49, 37
	v_sub_f32_e32 v46, v33, v30
	v_add_f32_e32 v57, v30, v33
	ds_write_b32 v38, v28 offset:24
	v_sub_nc_u16 v19, v3, v27
	v_lshrrev_b16 v39, 8, v18
	v_add_nc_u32_e32 v0, v10, v12
	v_mad_i32_i24 v28, 0xffffffe8, v3, v56
	v_lshl_add_u32 v30, v14, 2, v10
	v_lshrrev_b16 v23, 1, v19
	v_sub_nc_u16 v24, v16, v39
	v_lshl_add_u32 v31, v11, 2, v10
	v_mad_i32_i24 v29, 0xffffffe8, v16, v38
	v_lshl_add_u32 v32, v7, 2, v10
	v_and_b32_e32 v40, 0x7f, v23
	v_lshrrev_b16 v41, 1, v24
	v_lshl_add_u32 v33, v13, 2, v10
	v_lshl_add_u32 v34, v9, 2, v10
	s_waitcnt lgkmcnt(0)
	v_add_nc_u16 v40, v40, v27
	v_and_b32_e32 v58, 0x7f, v41
	s_barrier
	buffer_gl0_inv
	ds_read_b32 v22, v0
	v_lshrrev_b16 v59, 2, v40
	v_add_nc_u16 v39, v58, v39
	ds_read2_b32 v[43:44], v28 offset0:112 offset1:128
	ds_read2_b32 v[20:21], v28 offset0:144 offset1:160
	;; [unrolled: 1-line block ×3, first 2 shown]
	v_mul_lo_u16 v40, v59, 7
	v_lshrrev_b16 v60, 2, v39
	ds_read_b32 v26, v31
	ds_read_b32 v23, v32
	;; [unrolled: 1-line block ×6, first 2 shown]
	ds_read_b32 v42, v28 offset:832
	s_waitcnt lgkmcnt(0)
	s_barrier
	buffer_gl0_inv
	ds_write2_b32 v56, v47, v48 offset1:1
	ds_write2_b32 v56, v50, v51 offset0:2 offset1:3
	ds_write2_b32 v56, v52, v53 offset0:4 offset1:5
	ds_write_b32 v56, v45 offset:24
	ds_write2_b32 v38, v35, v36 offset1:1
	v_mul_lo_u16 v36, v60, 7
	v_sub_nc_u16 v61, v3, v40
	v_mov_b32_e32 v35, 3
	ds_write2_b32 v38, v46, v54 offset0:2 offset1:3
	ds_write2_b32 v38, v55, v57 offset0:4 offset1:5
	ds_write_b32 v38, v37 offset:24
	s_waitcnt lgkmcnt(0)
	v_sub_nc_u16 v62, v16, v36
	s_barrier
	v_lshlrev_b32_sdwa v36, v35, v61 dst_sel:DWORD dst_unused:UNUSED_PAD src0_sel:DWORD src1_sel:BYTE_0
	buffer_gl0_inv
	v_and_b32_e32 v50, 0xff, v14
	v_lshlrev_b32_sdwa v37, v35, v62 dst_sel:DWORD dst_unused:UNUSED_PAD src0_sel:DWORD src1_sel:BYTE_0
	s_clause 0x1
	global_load_dwordx2 v[45:46], v36, s[12:13]
	global_load_dwordx2 v[47:48], v37, s[12:13]
	v_mul_lo_u16 v36, v50, 37
	v_and_b32_e32 v37, 0xff, v11
	v_cmp_gt_u32_e64 s0, 14, v3
	v_add3_u32 v12, 0, v12, v8
	v_lshrrev_b16 v36, 8, v36
	v_mul_lo_u16 v39, v37, 37
	v_sub_nc_u16 v38, v14, v36
	v_lshrrev_b16 v39, 8, v39
	v_lshrrev_b16 v38, 1, v38
	v_sub_nc_u16 v40, v11, v39
	v_and_b32_e32 v38, 0x7f, v38
	v_add_nc_u16 v36, v38, v36
	v_lshrrev_b16 v38, 1, v40
	v_and_b32_e32 v40, 0xff, v7
	v_lshrrev_b16 v63, 2, v36
	v_and_b32_e32 v36, 0x7f, v38
	v_mul_lo_u16 v38, v63, 7
	v_add_nc_u16 v36, v36, v39
	v_mul_lo_u16 v39, v40, 37
	v_sub_nc_u16 v64, v14, v38
	v_lshrrev_b16 v65, 2, v36
	v_and_b32_e32 v38, 0xff, v13
	v_lshlrev_b32_sdwa v36, v35, v64 dst_sel:DWORD dst_unused:UNUSED_PAD src0_sel:DWORD src1_sel:BYTE_0
	v_mul_lo_u16 v53, v65, 7
	global_load_dwordx2 v[51:52], v36, s[12:13]
	v_lshrrev_b16 v36, 8, v39
	v_sub_nc_u16 v66, v11, v53
	v_mul_lo_u16 v53, v38, 37
	v_and_b32_e32 v39, 0xff, v9
	v_sub_nc_u16 v54, v7, v36
	v_lshlrev_b32_sdwa v55, v35, v66 dst_sel:DWORD dst_unused:UNUSED_PAD src0_sel:DWORD src1_sel:BYTE_0
	v_lshrrev_b16 v57, 8, v53
	v_mul_lo_u16 v56, v39, 37
	v_lshrrev_b16 v58, 1, v54
	global_load_dwordx2 v[53:54], v55, s[12:13]
	v_sub_nc_u16 v55, v13, v57
	v_lshrrev_b16 v67, 8, v56
	v_and_b32_e32 v56, 0x7f, v58
	v_lshrrev_b16 v55, 1, v55
	v_sub_nc_u16 v58, v9, v67
	v_add_nc_u16 v36, v56, v36
	v_and_b32_e32 v68, 0x7f, v55
	v_lshrrev_b16 v58, 1, v58
	ds_read2_b32 v[55:56], v28 offset0:112 offset1:128
	v_lshrrev_b16 v69, 2, v36
	v_add_nc_u16 v36, v68, v57
	v_and_b32_e32 v57, 0x7f, v58
	v_mul_lo_u16 v58, v69, 7
	v_lshrrev_b16 v68, 2, v36
	v_add_nc_u16 v36, v57, v67
	v_sub_nc_u16 v67, v7, v58
	v_mul_lo_u16 v57, v68, 7
	v_lshrrev_b16 v70, 2, v36
	v_and_b32_e32 v68, 0xffff, v68
	v_lshlrev_b32_sdwa v36, v35, v67 dst_sel:DWORD dst_unused:UNUSED_PAD src0_sel:DWORD src1_sel:BYTE_0
	v_sub_nc_u16 v71, v13, v57
	v_mul_lo_u16 v72, v70, 7
	v_mad_u32_u24 v68, v68, 56, 0
	global_load_dwordx2 v[57:58], v36, s[12:13]
	v_lshlrev_b32_sdwa v36, v35, v71 dst_sel:DWORD dst_unused:UNUSED_PAD src0_sel:DWORD src1_sel:BYTE_0
	v_sub_nc_u16 v72, v9, v72
	s_waitcnt vmcnt(4) lgkmcnt(0)
	v_mul_f32_e32 v73, v55, v46
	v_mul_f32_e32 v74, v43, v46
	s_waitcnt vmcnt(3)
	v_mul_f32_e32 v75, v56, v48
	v_fma_f32 v73, v43, v45, -v73
	v_fmac_f32_e32 v74, v55, v45
	global_load_dwordx2 v[45:46], v36, s[12:13]
	v_lshlrev_b32_sdwa v36, v35, v72 dst_sel:DWORD dst_unused:UNUSED_PAD src0_sel:DWORD src1_sel:BYTE_0
	v_fma_f32 v55, v44, v47, -v75
	v_mul_f32_e32 v75, v44, v48
	global_load_dwordx2 v[43:44], v36, s[12:13]
	v_fmac_f32_e32 v75, v56, v47
	ds_read2_b32 v[47:48], v28 offset0:144 offset1:160
	v_and_b32_e32 v56, 0xffff, v59
	s_waitcnt vmcnt(4) lgkmcnt(0)
	v_mul_f32_e32 v36, v47, v52
	v_mul_f32_e32 v52, v20, v52
	v_fma_f32 v59, v20, v51, -v36
	v_mov_b32_e32 v36, 2
	v_fmac_f32_e32 v52, v47, v51
	v_mad_u32_u24 v20, v56, 56, 0
	v_and_b32_e32 v56, 0xffff, v60
	v_lshlrev_b32_sdwa v47, v36, v61 dst_sel:DWORD dst_unused:UNUSED_PAD src0_sel:DWORD src1_sel:BYTE_0
	s_waitcnt vmcnt(3)
	v_mul_f32_e32 v51, v48, v54
	v_mul_f32_e32 v54, v21, v54
	v_lshlrev_b32_sdwa v67, v36, v67 dst_sel:DWORD dst_unused:UNUSED_PAD src0_sel:DWORD src1_sel:BYTE_0
	v_lshlrev_b32_sdwa v64, v36, v64 dst_sel:DWORD dst_unused:UNUSED_PAD src0_sel:DWORD src1_sel:BYTE_0
	v_add3_u32 v60, v20, v47, v8
	v_fma_f32 v47, v21, v53, -v51
	ds_read2_b32 v[20:21], v28 offset0:176 offset1:192
	v_mad_u32_u24 v51, v56, 56, 0
	v_lshlrev_b32_sdwa v56, v36, v62 dst_sel:DWORD dst_unused:UNUSED_PAD src0_sel:DWORD src1_sel:BYTE_0
	v_fmac_f32_e32 v54, v48, v53
	v_and_b32_e32 v48, 0xffff, v63
	v_and_b32_e32 v63, 0xffff, v65
	;; [unrolled: 1-line block ×3, first 2 shown]
	ds_read_b32 v53, v31
	ds_read_b32 v61, v32
	;; [unrolled: 1-line block ×4, first 2 shown]
	v_add3_u32 v51, v51, v56, v8
	ds_read_b32 v56, v28 offset:832
	v_mad_u32_u24 v48, v48, 56, 0
	v_mad_u32_u24 v65, v65, 56, 0
	;; [unrolled: 1-line block ×3, first 2 shown]
	v_lshlrev_b32_sdwa v66, v36, v66 dst_sel:DWORD dst_unused:UNUSED_PAD src0_sel:DWORD src1_sel:BYTE_0
	v_lshlrev_b32_sdwa v69, v36, v71 dst_sel:DWORD dst_unused:UNUSED_PAD src0_sel:DWORD src1_sel:BYTE_0
	ds_read_b32 v71, v29
	v_add3_u32 v65, v65, v67, v8
	v_add3_u32 v64, v48, v64, v8
	v_and_b32_e32 v48, 0xffff, v70
	v_add3_u32 v63, v63, v66, v8
	v_add3_u32 v66, v68, v69, v8
	v_lshlrev_b32_sdwa v69, v36, v72 dst_sel:DWORD dst_unused:UNUSED_PAD src0_sel:DWORD src1_sel:BYTE_0
	v_mad_u32_u24 v48, v48, 56, 0
	s_waitcnt vmcnt(2) lgkmcnt(6)
	v_mul_f32_e32 v67, v20, v58
	v_mul_f32_e32 v58, v18, v58
	v_fma_f32 v18, v18, v57, -v67
	v_fmac_f32_e32 v58, v20, v57
	ds_read_b32 v57, v30
	ds_read_b32 v68, v0
	v_add3_u32 v67, v48, v69, v8
	v_sub_f32_e32 v18, v23, v18
	s_waitcnt vmcnt(0) lgkmcnt(0)
	s_barrier
	buffer_gl0_inv
	v_fma_f32 v23, v23, 2.0, -v18
	v_mul_f32_e32 v20, v21, v46
	v_mul_f32_e32 v69, v19, v46
	v_fma_f32 v19, v19, v45, -v20
	v_mul_f32_e32 v20, v56, v44
	v_mul_f32_e32 v70, v42, v44
	v_fmac_f32_e32 v69, v21, v45
	v_sub_f32_e32 v21, v22, v73
	v_sub_f32_e32 v44, v26, v47
	v_fma_f32 v20, v42, v43, -v20
	v_sub_f32_e32 v42, v41, v55
	v_fmac_f32_e32 v70, v56, v43
	v_sub_f32_e32 v43, v27, v59
	v_sub_f32_e32 v19, v24, v19
	;; [unrolled: 1-line block ×3, first 2 shown]
	v_fma_f32 v22, v22, 2.0, -v21
	v_fma_f32 v41, v41, 2.0, -v42
	;; [unrolled: 1-line block ×4, first 2 shown]
	v_sub_f32_e32 v55, v68, v74
	v_fma_f32 v24, v24, 2.0, -v19
	v_fma_f32 v25, v25, 2.0, -v20
	ds_write2_b32 v60, v22, v21 offset1:7
	ds_write2_b32 v51, v41, v42 offset1:7
	;; [unrolled: 1-line block ×7, first 2 shown]
	v_sub_f32_e32 v18, v71, v75
	v_sub_f32_e32 v19, v57, v52
	v_fma_f32 v56, v68, 2.0, -v55
	v_sub_f32_e32 v52, v53, v54
	s_waitcnt lgkmcnt(0)
	v_fma_f32 v20, v71, 2.0, -v18
	v_fma_f32 v21, v57, 2.0, -v19
	s_barrier
	buffer_gl0_inv
	ds_read_b32 v41, v0
	ds_read_b32 v42, v31
	ds_read_b32 v43, v32
	ds_read_b32 v44, v33
	ds_read_b32 v45, v34
	ds_read_b32 v46, v30
	ds_read_b32 v47, v29
	ds_read_b32 v48, v28 offset:832
	ds_read2_b32 v[26:27], v28 offset0:112 offset1:128
	ds_read2_b32 v[24:25], v28 offset0:144 offset1:160
	;; [unrolled: 1-line block ×3, first 2 shown]
	s_waitcnt lgkmcnt(0)
	s_barrier
	buffer_gl0_inv
	ds_write2_b32 v60, v56, v55 offset1:7
	ds_write2_b32 v51, v20, v18 offset1:7
	;; [unrolled: 1-line block ×3, first 2 shown]
	v_lshrrev_b16 v20, 1, v49
	v_fma_f32 v18, v53, 2.0, -v52
	v_add_nc_u32_e32 v19, -14, v3
	v_sub_f32_e32 v51, v61, v58
	v_sub_f32_e32 v53, v62, v69
	v_mul_lo_u16 v49, 0x93, v20
	ds_write2_b32 v63, v18, v52 offset1:7
	v_cndmask_b32_e64 v18, v19, v3, s0
	v_mov_b32_e32 v19, 0
	v_sub_f32_e32 v54, v76, v70
	v_lshrrev_b16 v63, 10, v49
	v_lshrrev_b16 v49, 1, v50
	v_fma_f32 v52, v61, 2.0, -v51
	v_lshlrev_b64 v[20:21], 3, v[18:19]
	v_fma_f32 v55, v62, 2.0, -v53
	v_mul_lo_u16 v50, v63, 14
	v_mul_lo_u16 v49, 0x93, v49
	v_fma_f32 v56, v76, 2.0, -v54
	ds_write2_b32 v65, v52, v51 offset1:7
	ds_write2_b32 v66, v55, v53 offset1:7
	;; [unrolled: 1-line block ×3, first 2 shown]
	v_add_co_u32 v20, s0, s12, v20
	v_lshrrev_b16 v64, 10, v49
	v_sub_nc_u16 v65, v16, v50
	v_add_co_ci_u32_e64 v21, s0, s13, v21, s0
	s_waitcnt lgkmcnt(0)
	v_mul_lo_u16 v49, v64, 14
	v_lshlrev_b32_sdwa v50, v35, v65 dst_sel:DWORD dst_unused:UNUSED_PAD src0_sel:DWORD src1_sel:BYTE_0
	s_barrier
	buffer_gl0_inv
	global_load_dwordx2 v[51:52], v[20:21], off offset:56
	v_sub_nc_u16 v66, v14, v49
	global_load_dwordx2 v[53:54], v50, s[12:13] offset:56
	v_lshrrev_b16 v21, 1, v38
	ds_read2_b32 v[57:58], v28 offset0:112 offset1:128
	v_lshlrev_b32_sdwa v20, v35, v66 dst_sel:DWORD dst_unused:UNUSED_PAD src0_sel:DWORD src1_sel:BYTE_0
	v_mul_lo_u16 v61, 0x93, v21
	global_load_dwordx2 v[55:56], v20, s[12:13] offset:56
	v_lshrrev_b16 v20, 1, v37
	v_lshrrev_b16 v68, 10, v61
	ds_read2_b32 v[61:62], v28 offset0:144 offset1:160
	v_lshrrev_b16 v37, 2, v37
	v_mul_lo_u16 v20, 0x93, v20
	v_mul_lo_u16 v70, v68, 14
	;; [unrolled: 1-line block ×3, first 2 shown]
	v_lshrrev_b16 v50, 10, v20
	v_sub_nc_u16 v70, v13, v70
	v_mul_lo_u16 v20, v50, 14
	v_sub_nc_u16 v49, v11, v20
	v_lshrrev_b16 v20, 1, v40
	v_lshrrev_b16 v40, 2, v40
	v_lshlrev_b32_sdwa v59, v35, v49 dst_sel:DWORD dst_unused:UNUSED_PAD src0_sel:DWORD src1_sel:BYTE_0
	v_mul_lo_u16 v20, 0x93, v20
	v_lshlrev_b32_sdwa v49, v36, v49 dst_sel:DWORD dst_unused:UNUSED_PAD src0_sel:DWORD src1_sel:BYTE_0
	global_load_dwordx2 v[59:60], v59, s[12:13] offset:56
	v_lshrrev_b16 v67, 10, v20
	v_lshlrev_b64 v[20:21], 3, v[3:4]
	v_lshrrev_b16 v4, 1, v39
	v_lshrrev_b16 v39, 2, v39
	v_mul_lo_u16 v69, v67, 14
	v_mul_lo_u16 v4, 0x93, v4
	v_add_co_u32 v20, s0, s12, v20
	v_sub_nc_u16 v69, v7, v69
	v_add_co_ci_u32_e64 v21, s0, s13, v21, s0
	v_lshrrev_b16 v4, 10, v4
	v_cmp_lt_u32_e64 s0, 13, v3
	s_waitcnt vmcnt(3) lgkmcnt(1)
	v_mul_f32_e32 v71, v57, v52
	v_mul_f32_e32 v72, v26, v52
	v_lshlrev_b32_sdwa v52, v35, v69 dst_sel:DWORD dst_unused:UNUSED_PAD src0_sel:DWORD src1_sel:BYTE_0
	s_waitcnt vmcnt(2)
	v_mul_f32_e32 v73, v58, v54
	v_fma_f32 v71, v26, v51, -v71
	v_fmac_f32_e32 v72, v57, v51
	v_lshlrev_b32_sdwa v51, v35, v70 dst_sel:DWORD dst_unused:UNUSED_PAD src0_sel:DWORD src1_sel:BYTE_0
	v_mul_f32_e32 v57, v27, v54
	v_fma_f32 v73, v27, v53, -v73
	s_clause 0x1
	global_load_dwordx2 v[26:27], v52, s[12:13] offset:56
	global_load_dwordx2 v[51:52], v51, s[12:13] offset:56
	v_mul_lo_u16 v54, v4, 14
	v_fmac_f32_e32 v57, v58, v53
	s_waitcnt vmcnt(3) lgkmcnt(0)
	v_mul_f32_e32 v53, v61, v56
	v_mul_f32_e32 v56, v24, v56
	v_cndmask_b32_e64 v58, 0, 0x70, s0
	v_cmp_gt_u32_e64 s0, 28, v16
	v_and_b32_e32 v4, 0xffff, v4
	v_fma_f32 v74, v24, v55, -v53
	v_fmac_f32_e32 v56, v61, v55
	v_add_nc_u32_e32 v24, -12, v3
	v_sub_nc_u16 v55, v9, v54
	v_add_nc_u32_e32 v53, 0, v58
	v_lshlrev_b32_e32 v54, 2, v18
	v_and_b32_e32 v61, 0xffff, v64
	v_cndmask_b32_e64 v18, v24, v16, s0
	v_lshlrev_b32_sdwa v24, v35, v55 dst_sel:DWORD dst_unused:UNUSED_PAD src0_sel:DWORD src1_sel:BYTE_0
	v_lshlrev_b32_sdwa v64, v36, v66 dst_sel:DWORD dst_unused:UNUSED_PAD src0_sel:DWORD src1_sel:BYTE_0
	v_add3_u32 v58, v53, v54, v8
	v_mad_u32_u24 v61, 0x70, v61, 0
	v_mul_lo_u16 v66, v39, 37
	global_load_dwordx2 v[53:54], v24, s[12:13] offset:56
	v_and_b32_e32 v24, 0xffff, v63
	v_lshlrev_b32_sdwa v63, v36, v65 dst_sel:DWORD dst_unused:UNUSED_PAD src0_sel:DWORD src1_sel:BYTE_0
	v_add3_u32 v61, v61, v64, v8
	v_and_b32_e32 v39, 0xffff, v50
	v_lshrrev_b16 v65, 2, v38
	v_mad_u32_u24 v24, 0x70, v24, 0
	v_mul_lo_u16 v38, v40, 37
	v_and_b32_e32 v40, 0xffff, v67
	v_and_b32_e32 v50, 0xffff, v68
	v_lshrrev_b16 v67, 8, v37
	v_add3_u32 v63, v24, v63, v8
	s_waitcnt vmcnt(3)
	v_mul_f32_e32 v24, v62, v60
	v_mul_f32_e32 v60, v25, v60
	v_mad_u32_u24 v37, 0x70, v39, 0
	v_mad_u32_u24 v39, 0x70, v40, 0
	;; [unrolled: 1-line block ×3, first 2 shown]
	v_fma_f32 v64, v25, v59, -v24
	ds_read2_b32 v[24:25], v28 offset0:176 offset1:192
	v_lshlrev_b32_sdwa v50, v36, v69 dst_sel:DWORD dst_unused:UNUSED_PAD src0_sel:DWORD src1_sel:BYTE_0
	v_fmac_f32_e32 v60, v62, v59
	ds_read_b32 v59, v28 offset:832
	v_add3_u32 v49, v37, v49, v8
	v_lshlrev_b32_sdwa v68, v36, v70 dst_sel:DWORD dst_unused:UNUSED_PAD src0_sel:DWORD src1_sel:BYTE_0
	v_mad_u32_u24 v4, 0x70, v4, 0
	v_lshlrev_b32_sdwa v55, v36, v55 dst_sel:DWORD dst_unused:UNUSED_PAD src0_sel:DWORD src1_sel:BYTE_0
	v_add3_u32 v39, v39, v50, v8
	v_lshrrev_b16 v50, 8, v38
	v_add3_u32 v40, v40, v68, v8
	v_add3_u32 v4, v4, v55, v8
	v_sub_f32_e32 v55, v46, v74
	s_waitcnt vmcnt(2) lgkmcnt(1)
	v_mul_f32_e32 v62, v24, v27
	v_mul_f32_e32 v27, v22, v27
	s_waitcnt vmcnt(1)
	v_mul_f32_e32 v69, v25, v52
	v_mul_f32_e32 v37, v23, v52
	v_fma_f32 v52, v22, v26, -v62
	v_fmac_f32_e32 v27, v24, v26
	v_fma_f32 v24, v23, v51, -v69
	ds_read_b32 v26, v31
	ds_read_b32 v62, v32
	;; [unrolled: 1-line block ×4, first 2 shown]
	v_fmac_f32_e32 v37, v25, v51
	ds_read_b32 v25, v30
	ds_read_b32 v51, v29
	ds_read_b32 v75, v0
	v_lshlrev_b64 v[22:23], 3, v[18:19]
	v_sub_f32_e32 v52, v43, v52
	v_sub_f32_e32 v24, v44, v24
	s_waitcnt vmcnt(0) lgkmcnt(0)
	s_barrier
	buffer_gl0_inv
	v_add_co_u32 v22, s0, s12, v22
	v_fma_f32 v43, v43, 2.0, -v52
	v_fma_f32 v44, v44, 2.0, -v24
	v_add_co_ci_u32_e64 v23, s0, s13, v23, s0
	v_mul_f32_e32 v38, v59, v54
	v_mul_f32_e32 v54, v48, v54
	v_sub_f32_e32 v60, v26, v60
	v_sub_f32_e32 v68, v62, v27
	v_cmp_lt_u32_e64 s0, 27, v16
	v_fma_f32 v38, v48, v53, -v38
	v_fmac_f32_e32 v54, v59, v53
	v_sub_f32_e32 v48, v41, v71
	v_sub_f32_e32 v59, v42, v64
	;; [unrolled: 1-line block ×9, first 2 shown]
	v_fma_f32 v27, v41, 2.0, -v48
	v_fma_f32 v41, v46, 2.0, -v55
	;; [unrolled: 1-line block ×12, first 2 shown]
	ds_write2_b32 v58, v27, v48 offset1:14
	ds_write2_b32 v63, v37, v53 offset1:14
	;; [unrolled: 1-line block ×7, first 2 shown]
	s_waitcnt lgkmcnt(0)
	s_barrier
	buffer_gl0_inv
	ds_read_b32 v59, v0
	ds_read_b32 v73, v31
	;; [unrolled: 1-line block ×7, first 2 shown]
	ds_read_b32 v79, v28 offset:832
	ds_read2_b32 v[24:25], v28 offset0:112 offset1:128
	ds_read2_b32 v[26:27], v28 offset0:144 offset1:160
	;; [unrolled: 1-line block ×3, first 2 shown]
	s_waitcnt lgkmcnt(0)
	s_barrier
	buffer_gl0_inv
	ds_write2_b32 v58, v46, v64 offset1:14
	ds_write2_b32 v63, v47, v57 offset1:14
	;; [unrolled: 1-line block ×7, first 2 shown]
	s_waitcnt lgkmcnt(0)
	s_barrier
	buffer_gl0_inv
	global_load_dwordx2 v[39:40], v[20:21], off offset:168
	v_mul_lo_u16 v4, v65, 37
	v_lshrrev_b16 v43, 8, v66
	v_mul_lo_u16 v45, v50, 28
	v_mul_lo_u16 v44, v67, 28
	global_load_dwordx2 v[41:42], v[22:23], off offset:168
	v_lshrrev_b16 v4, 8, v4
	v_mul_lo_u16 v23, v43, 28
	v_sub_nc_u16 v22, v7, v45
	v_sub_nc_u16 v55, v11, v44
	global_load_dwordx2 v[43:44], v[20:21], off offset:200
	v_mul_lo_u16 v45, v4, 28
	v_lshlrev_b64 v[16:17], 3, v[16:17]
	v_and_b32_e32 v56, 0xff, v22
	v_sub_nc_u16 v22, v9, v23
	v_lshlrev_b32_sdwa v46, v35, v55 dst_sel:DWORD dst_unused:UNUSED_PAD src0_sel:DWORD src1_sel:BYTE_0
	v_sub_nc_u16 v57, v13, v45
	v_add_nc_u32_e32 v60, -8, v3
	v_lshlrev_b32_e32 v23, 3, v56
	v_and_b32_e32 v58, 0xff, v22
	global_load_dwordx2 v[45:46], v46, s[12:13] offset:168
	v_lshlrev_b32_sdwa v22, v35, v57 dst_sel:DWORD dst_unused:UNUSED_PAD src0_sel:DWORD src1_sel:BYTE_0
	v_cndmask_b32_e64 v35, 0, 0xe0, s0
	global_load_dwordx2 v[47:48], v23, s[12:13] offset:168
	v_lshlrev_b32_e32 v23, 3, v58
	s_clause 0x1
	global_load_dwordx2 v[49:50], v22, s[12:13] offset:168
	global_load_dwordx2 v[51:52], v23, s[12:13] offset:168
	ds_read2_b32 v[53:54], v28 offset0:112 offset1:128
	v_lshlrev_b64 v[22:23], 3, v[14:15]
	v_add_co_u32 v15, s0, s12, v16
	v_add_co_ci_u32_e64 v16, s0, s13, v17, s0
	v_and_b32_e32 v17, 0xffff, v67
	v_add_co_u32 v22, s0, s12, v22
	v_add_co_ci_u32_e64 v23, s0, s13, v23, s0
	v_cmp_gt_u32_e64 s0, 56, v11
	v_mad_u32_u24 v17, 0xe0, v17, 0
	v_lshlrev_b32_sdwa v55, v36, v55 dst_sel:DWORD dst_unused:UNUSED_PAD src0_sel:DWORD src1_sel:BYTE_0
	v_add_nc_u32_e32 v14, 0, v35
	v_and_b32_e32 v4, 0xffff, v4
	v_lshlrev_b32_e32 v35, 2, v18
	v_cndmask_b32_e64 v18, v60, v11, s0
	v_add3_u32 v17, v17, v55, v8
	v_lshl_add_u32 v60, v56, 2, v10
	ds_read2_b32 v[55:56], v28 offset0:144 offset1:160
	v_mad_u32_u24 v4, 0xe0, v4, 0
	v_lshlrev_b32_sdwa v57, v36, v57 dst_sel:DWORD dst_unused:UNUSED_PAD src0_sel:DWORD src1_sel:BYTE_0
	v_lshl_add_u32 v10, v58, 2, v10
	v_add3_u32 v14, v14, v35, v8
	v_lshlrev_b64 v[35:36], 3, v[18:19]
	v_add3_u32 v4, v4, v57, v8
	ds_read2_b32 v[57:58], v28 offset0:176 offset1:192
	ds_read_b32 v62, v31
	ds_read_b32 v63, v32
	;; [unrolled: 1-line block ×4, first 2 shown]
	v_add_co_u32 v35, s0, s12, v35
	v_add_co_ci_u32_e64 v36, s0, s13, v36, s0
	v_cmp_lt_u32_e64 s0, 55, v11
	s_waitcnt vmcnt(6) lgkmcnt(6)
	v_mul_f32_e32 v61, v53, v40
	v_mul_f32_e32 v40, v24, v40
	s_waitcnt vmcnt(5)
	v_mul_f32_e32 v66, v54, v42
	v_fma_f32 v24, v24, v39, -v61
	v_fmac_f32_e32 v40, v53, v39
	v_mul_f32_e32 v39, v25, v42
	ds_read_b32 v42, v28 offset:832
	v_fma_f32 v25, v25, v41, -v66
	ds_read_b32 v53, v30
	ds_read_b32 v61, v29
	v_sub_f32_e32 v24, v59, v24
	v_fmac_f32_e32 v39, v54, v41
	ds_read_b32 v41, v0
	s_waitcnt vmcnt(4) lgkmcnt(9)
	v_mul_f32_e32 v54, v55, v44
	v_mul_f32_e32 v44, v26, v44
	v_sub_f32_e32 v25, v78, v25
	s_waitcnt vmcnt(0) lgkmcnt(0)
	s_barrier
	v_mul_f32_e32 v66, v56, v46
	v_fma_f32 v26, v26, v43, -v54
	v_fmac_f32_e32 v44, v55, v43
	v_mul_f32_e32 v43, v27, v46
	v_mul_f32_e32 v46, v57, v48
	v_fma_f32 v27, v27, v45, -v66
	v_mul_f32_e32 v48, v37, v48
	v_mul_f32_e32 v54, v58, v50
	v_fmac_f32_e32 v43, v56, v45
	v_mul_f32_e32 v45, v38, v50
	v_mul_f32_e32 v50, v42, v52
	v_mul_f32_e32 v52, v79, v52
	v_fma_f32 v37, v37, v47, -v46
	v_fmac_f32_e32 v48, v57, v47
	v_fma_f32 v38, v38, v49, -v54
	v_fma_f32 v46, v79, v51, -v50
	v_fmac_f32_e32 v45, v58, v49
	v_fmac_f32_e32 v52, v42, v51
	v_sub_f32_e32 v40, v41, v40
	v_sub_f32_e32 v39, v61, v39
	;; [unrolled: 1-line block ×12, first 2 shown]
	v_fma_f32 v48, v59, 2.0, -v24
	v_fma_f32 v41, v41, 2.0, -v40
	;; [unrolled: 1-line block ×11, first 2 shown]
	buffer_gl0_inv
	v_fma_f32 v54, v75, 2.0, -v38
	v_fma_f32 v59, v64, 2.0, -v45
	;; [unrolled: 1-line block ×3, first 2 shown]
	ds_write2_b32 v28, v48, v24 offset1:28
	ds_write2_b32 v14, v49, v25 offset1:28
	ds_write2_b32 v12, v50, v26 offset0:60 offset1:88
	ds_write2_b32 v17, v51, v27 offset1:28
	ds_write2_b32 v60, v52, v37 offset0:112 offset1:140
	;; [unrolled: 2-line block ×3, first 2 shown]
	s_waitcnt lgkmcnt(0)
	s_barrier
	buffer_gl0_inv
	ds_read_b32 v55, v0
	ds_read2_b32 v[24:25], v28 offset0:112 offset1:128
	ds_read2_b32 v[26:27], v28 offset0:144 offset1:160
	;; [unrolled: 1-line block ×3, first 2 shown]
	ds_read_b32 v62, v31
	ds_read_b32 v63, v32
	;; [unrolled: 1-line block ×6, first 2 shown]
	ds_read_b32 v68, v28 offset:832
	s_waitcnt lgkmcnt(0)
	s_barrier
	buffer_gl0_inv
	ds_write2_b32 v28, v41, v40 offset1:28
	ds_write2_b32 v14, v56, v39 offset1:28
	ds_write2_b32 v12, v53, v44 offset0:60 offset1:88
	ds_write2_b32 v17, v57, v43 offset1:28
	ds_write2_b32 v60, v58, v46 offset0:112 offset1:140
	;; [unrolled: 2-line block ×3, first 2 shown]
	s_waitcnt lgkmcnt(0)
	s_barrier
	buffer_gl0_inv
	s_clause 0x6
	global_load_dwordx2 v[39:40], v[20:21], off offset:392
	global_load_dwordx2 v[41:42], v[15:16], off offset:392
	;; [unrolled: 1-line block ×7, first 2 shown]
	v_cndmask_b32_e64 v4, 0, 0x1c0, s0
	ds_read2_b32 v[51:52], v28 offset0:112 offset1:128
	v_lshlrev_b32_e32 v10, 2, v18
	ds_read2_b32 v[17:18], v28 offset0:144 offset1:160
	v_add_nc_u32_e32 v4, 0, v4
	v_add3_u32 v8, v4, v10, v8
	ds_read2_b32 v[53:54], v28 offset0:176 offset1:192
	ds_read_b32 v10, v31
	ds_read_b32 v14, v32
	ds_read_b32 v56, v33
	ds_read_b32 v57, v34
	ds_read_b32 v58, v30
	ds_read_b32 v4, v29
	ds_read_b32 v59, v28 offset:832
	ds_read_b32 v60, v0
	s_waitcnt vmcnt(0) lgkmcnt(0)
	s_barrier
	buffer_gl0_inv
	v_mul_f32_e32 v70, v17, v44
	v_mul_f32_e32 v44, v26, v44
	;; [unrolled: 1-line block ×6, first 2 shown]
	v_fma_f32 v26, v26, v43, -v70
	v_fma_f32 v24, v24, v39, -v61
	v_fmac_f32_e32 v40, v51, v39
	v_mul_f32_e32 v39, v18, v36
	v_mul_f32_e32 v36, v27, v36
	v_fma_f32 v25, v25, v41, -v69
	v_mul_f32_e32 v51, v53, v46
	v_fmac_f32_e32 v42, v52, v41
	v_mul_f32_e32 v41, v54, v48
	v_mul_f32_e32 v52, v59, v50
	v_fmac_f32_e32 v44, v17, v43
	v_fma_f32 v17, v27, v35, -v39
	v_fmac_f32_e32 v36, v18, v35
	v_fma_f32 v18, v37, v45, -v51
	v_fma_f32 v27, v38, v47, -v41
	;; [unrolled: 1-line block ×3, first 2 shown]
	v_mul_f32_e32 v46, v37, v46
	v_sub_f32_e32 v24, v55, v24
	v_sub_f32_e32 v25, v67, v25
	v_mul_f32_e32 v50, v68, v50
	v_sub_f32_e32 v42, v4, v42
	v_sub_f32_e32 v26, v66, v26
	;; [unrolled: 1-line block ×6, first 2 shown]
	v_fmac_f32_e32 v46, v53, v45
	v_sub_f32_e32 v45, v10, v36
	v_fma_f32 v36, v55, 2.0, -v24
	v_fma_f32 v37, v67, 2.0, -v25
	v_fmac_f32_e32 v50, v59, v49
	v_fma_f32 v49, v4, 2.0, -v42
	v_fma_f32 v4, v66, 2.0, -v26
	v_mul_f32_e32 v48, v38, v48
	v_fma_f32 v38, v62, 2.0, -v17
	v_sub_f32_e32 v43, v60, v40
	v_fma_f32 v39, v63, 2.0, -v18
	v_fma_f32 v40, v64, 2.0, -v27
	;; [unrolled: 1-line block ×3, first 2 shown]
	ds_write2_b32 v28, v36, v24 offset1:56
	ds_write2_b32 v29, v37, v25 offset1:56
	;; [unrolled: 1-line block ×4, first 2 shown]
	ds_write2_b32 v12, v39, v40 offset0:120 offset1:136
	ds_write2_b32 v12, v41, v18 offset0:152 offset1:176
	;; [unrolled: 1-line block ×3, first 2 shown]
	s_waitcnt lgkmcnt(0)
	s_barrier
	buffer_gl0_inv
	ds_read_b32 v4, v0
	ds_read2_b32 v[17:18], v28 offset0:112 offset1:128
	ds_read2_b32 v[24:25], v28 offset0:144 offset1:160
	ds_read2_b32 v[26:27], v28 offset0:176 offset1:192
	ds_read_b32 v36, v31
	ds_read_b32 v38, v32
	;; [unrolled: 1-line block ×6, first 2 shown]
	ds_read_b32 v41, v28 offset:832
	v_fmac_f32_e32 v48, v54, v47
	v_sub_f32_e32 v44, v58, v44
	v_sub_f32_e32 v46, v14, v46
	;; [unrolled: 1-line block ×3, first 2 shown]
	v_fma_f32 v10, v10, 2.0, -v45
	v_sub_f32_e32 v47, v56, v48
	v_fma_f32 v48, v60, 2.0, -v43
	v_fma_f32 v51, v58, 2.0, -v44
	;; [unrolled: 1-line block ×5, first 2 shown]
	s_waitcnt lgkmcnt(0)
	s_barrier
	buffer_gl0_inv
	ds_write2_b32 v28, v48, v43 offset1:56
	ds_write2_b32 v29, v49, v42 offset1:56
	;; [unrolled: 1-line block ×4, first 2 shown]
	ds_write2_b32 v12, v14, v52 offset0:120 offset1:136
	ds_write2_b32 v12, v53, v46 offset0:152 offset1:176
	;; [unrolled: 1-line block ×3, first 2 shown]
	s_waitcnt lgkmcnt(0)
	s_barrier
	buffer_gl0_inv
	s_and_saveexec_b32 s0, vcc_lo
	s_cbranch_execz .LBB0_15
; %bb.14:
	v_lshrrev_b32_e32 v8, 4, v3
	v_mul_lo_u32 v42, s5, v5
	v_mul_lo_u32 v43, s4, v6
	v_mad_u64_u32 v[5:6], null, s4, v5, 0
	v_mul_hi_u32 v8, 0x24924925, v8
	v_add_nc_u32_e32 v48, 16, v3
	v_mov_b32_e32 v10, v19
	v_mov_b32_e32 v14, v19
	;; [unrolled: 1-line block ×3, first 2 shown]
	v_lshlrev_b64 v[1:2], 3, v[1:2]
	v_add3_u32 v6, v6, v43, v42
	v_lshlrev_b64 v[9:10], 3, v[9:10]
	v_mul_lo_u32 v44, 0x70, v8
	v_mov_b32_e32 v8, v19
	v_lshrrev_b32_e32 v19, 4, v48
	v_lshlrev_b64 v[13:14], 3, v[13:14]
	v_lshlrev_b64 v[11:12], 3, v[11:12]
	v_add_co_u32 v9, vcc_lo, s12, v9
	v_mul_hi_u32 v49, 0x24924925, v19
	v_sub_nc_u32_e32 v46, v3, v44
	v_lshlrev_b64 v[7:8], 3, v[7:8]
	v_add_co_ci_u32_e32 v10, vcc_lo, s13, v10, vcc_lo
	v_add_co_u32 v13, vcc_lo, s12, v13
	v_mad_u64_u32 v[42:43], null, s2, v46, 0
	v_add_nc_u32_e32 v50, 0x70, v46
	v_add_co_ci_u32_e32 v14, vcc_lo, s13, v14, vcc_lo
	v_add_co_u32 v7, vcc_lo, s12, v7
	v_mad_u64_u32 v[44:45], null, s2, v50, 0
	v_mov_b32_e32 v19, v43
	v_lshlrev_b64 v[5:6], 3, v[5:6]
	v_add_co_ci_u32_e32 v8, vcc_lo, s13, v8, vcc_lo
	v_add_co_u32 v11, vcc_lo, s12, v11
	v_mad_u64_u32 v[46:47], null, s3, v46, v[19:20]
	v_mul_lo_u32 v47, 0x70, v49
	v_mov_b32_e32 v19, v45
	v_add_co_ci_u32_e32 v12, vcc_lo, s13, v12, vcc_lo
	v_add_co_u32 v45, vcc_lo, s10, v5
	v_mov_b32_e32 v43, v46
	v_add_nc_u32_e32 v46, 32, v3
	v_add_co_ci_u32_e32 v51, vcc_lo, s11, v6, vcc_lo
	v_mad_u64_u32 v[5:6], null, s3, v50, v[19:20]
	v_lshrrev_b32_e32 v52, 4, v46
	v_sub_nc_u32_e32 v6, v48, v47
	v_add_co_u32 v76, vcc_lo, v45, v1
	v_add_co_ci_u32_e32 v77, vcc_lo, v51, v2, vcc_lo
	v_mul_hi_u32 v19, 0x24924925, v52
	v_mov_b32_e32 v45, v5
	v_mad_u64_u32 v[5:6], null, 0xe0, v49, v[6:7]
	v_add_nc_u32_e32 v51, 48, v3
	v_lshlrev_b64 v[1:2], 3, v[42:43]
	v_lshlrev_b64 v[42:43], 3, v[44:45]
	v_add_nc_u32_e32 v55, 64, v3
	v_mul_lo_u32 v6, 0x70, v19
	v_lshrrev_b32_e32 v48, 4, v51
	v_add_nc_u32_e32 v52, 0x70, v5
	v_mad_u64_u32 v[44:45], null, s2, v5, 0
	v_add_nc_u32_e32 v60, 0x50, v3
	v_mul_hi_u32 v53, 0x24924925, v48
	v_add_nc_u32_e32 v61, 0x60, v3
	v_sub_nc_u32_e32 v6, v46, v6
	v_mad_u64_u32 v[46:47], null, s2, v52, 0
	v_add_co_u32 v1, vcc_lo, v76, v1
	v_mad_u64_u32 v[48:49], null, 0xe0, v19, v[6:7]
	v_mov_b32_e32 v6, v45
	v_mul_lo_u32 v45, 0x70, v53
	v_mov_b32_e32 v19, v47
	v_lshrrev_b32_e32 v47, 4, v55
	v_add_co_ci_u32_e32 v2, vcc_lo, v77, v2, vcc_lo
	v_mad_u64_u32 v[49:50], null, s2, v48, 0
	v_mul_hi_u32 v56, 0x24924925, v47
	v_mad_u64_u32 v[5:6], null, s3, v5, v[6:7]
	v_sub_nc_u32_e32 v6, v51, v45
	v_mad_u64_u32 v[51:52], null, s3, v52, v[19:20]
	v_mov_b32_e32 v19, v50
	v_add_co_u32 v42, vcc_lo, v76, v42
	v_mad_u64_u32 v[52:53], null, 0xe0, v53, v[6:7]
	v_mad_u64_u32 v[53:54], null, s3, v48, v[19:20]
	v_add_nc_u32_e32 v19, 0x70, v48
	v_mul_lo_u32 v48, 0x70, v56
	v_mov_b32_e32 v47, v51
	v_lshrrev_b32_e32 v51, 4, v60
	v_mov_b32_e32 v45, v5
	v_mad_u64_u32 v[5:6], null, s2, v52, 0
	v_mov_b32_e32 v50, v53
	v_mul_hi_u32 v62, 0x24924925, v51
	v_sub_nc_u32_e32 v3, v55, v48
	v_lshrrev_b32_e32 v48, 4, v61
	v_mad_u64_u32 v[53:54], null, s2, v19, 0
	v_add_nc_u32_e32 v66, 0x70, v52
	v_mad_u64_u32 v[55:56], null, 0xe0, v56, v[3:4]
	v_mul_hi_u32 v63, 0x24924925, v48
	v_mul_lo_u32 v48, 0x70, v62
	v_mad_u64_u32 v[56:57], null, s3, v52, v[6:7]
	v_mov_b32_e32 v3, v54
	v_add_co_ci_u32_e32 v43, vcc_lo, v77, v43, vcc_lo
	v_mad_u64_u32 v[51:52], null, s2, v55, 0
	v_mul_lo_u32 v54, 0x70, v63
	v_mad_u64_u32 v[57:58], null, s3, v19, v[3:4]
	v_sub_nc_u32_e32 v3, v60, v48
	v_add_nc_u32_e32 v68, 0x70, v55
	v_mad_u64_u32 v[58:59], null, s2, v66, 0
	v_mov_b32_e32 v19, v52
	v_sub_nc_u32_e32 v48, v61, v54
	v_mad_u64_u32 v[60:61], null, 0xe0, v62, v[3:4]
	v_mov_b32_e32 v6, v56
	v_mad_u64_u32 v[54:55], null, s3, v55, v[19:20]
	v_mad_u64_u32 v[61:62], null, 0xe0, v63, v[48:49]
	;; [unrolled: 1-line block ×4, first 2 shown]
	v_mov_b32_e32 v3, v59
	v_add_nc_u32_e32 v48, 0x70, v60
	v_mad_u64_u32 v[64:65], null, s2, v61, 0
	v_mov_b32_e32 v19, v63
	v_mad_u64_u32 v[66:67], null, s3, v66, v[3:4]
	v_mov_b32_e32 v3, v56
	v_mov_b32_e32 v52, v54
	v_mad_u64_u32 v[67:68], null, s3, v68, v[19:20]
	v_mov_b32_e32 v19, v65
	v_mad_u64_u32 v[68:69], null, s3, v60, v[3:4]
	v_lshlrev_b64 v[5:6], 3, v[5:6]
	v_mov_b32_e32 v54, v57
	v_mad_u64_u32 v[59:60], null, s3, v61, v[19:20]
	v_add_nc_u32_e32 v19, 0x70, v61
	v_mad_u64_u32 v[60:61], null, s2, v48, 0
	v_mov_b32_e32 v56, v68
	v_mov_b32_e32 v63, v67
	v_mad_u64_u32 v[68:69], null, s2, v19, 0
	v_mov_b32_e32 v65, v59
	v_mov_b32_e32 v59, v66
	;; [unrolled: 1-line block ×3, first 2 shown]
	v_lshlrev_b64 v[46:47], 3, v[46:47]
	v_mad_u64_u32 v[70:71], null, s3, v48, v[3:4]
	v_mov_b32_e32 v3, v69
	v_mad_u64_u32 v[71:72], null, s3, v19, v[3:4]
	s_clause 0x6
	global_load_dwordx2 v[9:10], v[9:10], off offset:840
	global_load_dwordx2 v[13:14], v[13:14], off offset:840
	;; [unrolled: 1-line block ×7, first 2 shown]
	ds_read2_b32 v[72:73], v28 offset0:176 offset1:192
	ds_read2_b32 v[74:75], v28 offset0:144 offset1:160
	;; [unrolled: 1-line block ×3, first 2 shown]
	ds_read_b32 v3, v34
	ds_read_b32 v34, v33
	ds_read_b32 v78, v32
	ds_read_b32 v79, v31
	ds_read_b32 v80, v30
	ds_read_b32 v81, v29
	ds_read_b32 v21, v28 offset:832
	ds_read_b32 v0, v0
	v_lshlrev_b64 v[28:29], 3, v[44:45]
	v_lshlrev_b64 v[30:31], 3, v[49:50]
	;; [unrolled: 1-line block ×3, first 2 shown]
	v_mov_b32_e32 v61, v70
	v_lshlrev_b64 v[44:45], 3, v[55:56]
	v_lshlrev_b64 v[48:49], 3, v[64:65]
	v_add_co_u32 v28, vcc_lo, v76, v28
	v_add_co_ci_u32_e32 v29, vcc_lo, v77, v29, vcc_lo
	v_add_co_u32 v30, vcc_lo, v76, v30
	v_add_co_ci_u32_e32 v31, vcc_lo, v77, v31, vcc_lo
	;; [unrolled: 2-line block ×3, first 2 shown]
	v_add_co_u32 v32, vcc_lo, v76, v32
	v_lshlrev_b64 v[56:57], 3, v[60:61]
	v_add_co_ci_u32_e32 v33, vcc_lo, v77, v33, vcc_lo
	v_add_co_u32 v44, vcc_lo, v76, v44
	v_add_co_ci_u32_e32 v45, vcc_lo, v77, v45, vcc_lo
	v_lshlrev_b64 v[50:51], 3, v[53:54]
	v_lshlrev_b64 v[54:55], 3, v[62:63]
	v_add_co_u32 v48, vcc_lo, v76, v48
	v_add_co_ci_u32_e32 v49, vcc_lo, v77, v49, vcc_lo
	v_lshlrev_b64 v[52:53], 3, v[58:59]
	v_add_co_u32 v46, vcc_lo, v76, v46
	v_add_co_ci_u32_e32 v47, vcc_lo, v77, v47, vcc_lo
	v_add_co_u32 v50, vcc_lo, v76, v50
	v_mov_b32_e32 v69, v71
	v_add_co_ci_u32_e32 v51, vcc_lo, v77, v51, vcc_lo
	v_add_co_u32 v52, vcc_lo, v76, v52
	v_add_co_ci_u32_e32 v53, vcc_lo, v77, v53, vcc_lo
	v_lshlrev_b64 v[58:59], 3, v[68:69]
	v_add_co_u32 v54, vcc_lo, v76, v54
	v_add_co_ci_u32_e32 v55, vcc_lo, v77, v55, vcc_lo
	v_add_co_u32 v56, vcc_lo, v76, v56
	v_add_co_ci_u32_e32 v57, vcc_lo, v77, v57, vcc_lo
	;; [unrolled: 2-line block ×3, first 2 shown]
	s_waitcnt vmcnt(6)
	v_mul_f32_e32 v60, v41, v10
	s_waitcnt lgkmcnt(1)
	v_mul_f32_e32 v10, v21, v10
	s_waitcnt vmcnt(5)
	v_mul_f32_e32 v61, v27, v14
	v_mul_f32_e32 v14, v73, v14
	s_waitcnt vmcnt(4)
	v_mul_f32_e32 v62, v26, v8
	v_mul_f32_e32 v8, v72, v8
	v_fmac_f32_e32 v60, v21, v9
	s_waitcnt vmcnt(3)
	v_mul_f32_e32 v21, v25, v12
	v_fma_f32 v9, v41, v9, -v10
	v_mul_f32_e32 v10, v75, v12
	s_waitcnt vmcnt(2)
	v_mul_f32_e32 v41, v24, v23
	v_mul_f32_e32 v12, v74, v23
	v_fmac_f32_e32 v61, v73, v13
	v_fma_f32 v13, v27, v13, -v14
	s_waitcnt vmcnt(1)
	v_mul_f32_e32 v23, v18, v16
	v_mul_f32_e32 v14, v67, v16
	s_waitcnt vmcnt(0)
	v_mul_f32_e32 v27, v17, v20
	v_mul_f32_e32 v16, v66, v20
	v_fma_f32 v20, v26, v7, -v8
	v_fmac_f32_e32 v41, v74, v22
	v_fma_f32 v22, v24, v22, -v12
	v_fmac_f32_e32 v27, v66, v19
	;; [unrolled: 2-line block ×3, first 2 shown]
	v_fma_f32 v24, v18, v15, -v14
	v_fma_f32 v25, v25, v11, -v10
	v_fmac_f32_e32 v62, v72, v7
	v_fmac_f32_e32 v21, v75, v11
	v_sub_f32_e32 v7, v40, v9
	v_sub_f32_e32 v11, v38, v20
	s_waitcnt lgkmcnt(0)
	v_sub_f32_e32 v20, v0, v27
	v_sub_f32_e32 v19, v4, v19
	;; [unrolled: 1-line block ×12, first 2 shown]
	v_fma_f32 v21, v40, 2.0, -v7
	v_fma_f32 v41, v0, 2.0, -v20
	;; [unrolled: 1-line block ×14, first 2 shown]
	global_store_dwordx2 v[1:2], v[40:41], off
	global_store_dwordx2 v[42:43], v[19:20], off
	;; [unrolled: 1-line block ×14, first 2 shown]
.LBB0_15:
	s_endpgm
	.section	.rodata,"a",@progbits
	.p2align	6, 0x0
	.amdhsa_kernel fft_rtc_fwd_len224_factors_7_2_2_2_2_2_wgs_64_tpt_16_halfLds_sp_op_CI_CI_sbrr_dirReg
		.amdhsa_group_segment_fixed_size 0
		.amdhsa_private_segment_fixed_size 0
		.amdhsa_kernarg_size 104
		.amdhsa_user_sgpr_count 6
		.amdhsa_user_sgpr_private_segment_buffer 1
		.amdhsa_user_sgpr_dispatch_ptr 0
		.amdhsa_user_sgpr_queue_ptr 0
		.amdhsa_user_sgpr_kernarg_segment_ptr 1
		.amdhsa_user_sgpr_dispatch_id 0
		.amdhsa_user_sgpr_flat_scratch_init 0
		.amdhsa_user_sgpr_private_segment_size 0
		.amdhsa_wavefront_size32 1
		.amdhsa_uses_dynamic_stack 0
		.amdhsa_system_sgpr_private_segment_wavefront_offset 0
		.amdhsa_system_sgpr_workgroup_id_x 1
		.amdhsa_system_sgpr_workgroup_id_y 0
		.amdhsa_system_sgpr_workgroup_id_z 0
		.amdhsa_system_sgpr_workgroup_info 0
		.amdhsa_system_vgpr_workitem_id 0
		.amdhsa_next_free_vgpr 82
		.amdhsa_next_free_sgpr 31
		.amdhsa_reserve_vcc 1
		.amdhsa_reserve_flat_scratch 0
		.amdhsa_float_round_mode_32 0
		.amdhsa_float_round_mode_16_64 0
		.amdhsa_float_denorm_mode_32 3
		.amdhsa_float_denorm_mode_16_64 3
		.amdhsa_dx10_clamp 1
		.amdhsa_ieee_mode 1
		.amdhsa_fp16_overflow 0
		.amdhsa_workgroup_processor_mode 1
		.amdhsa_memory_ordered 1
		.amdhsa_forward_progress 0
		.amdhsa_shared_vgpr_count 0
		.amdhsa_exception_fp_ieee_invalid_op 0
		.amdhsa_exception_fp_denorm_src 0
		.amdhsa_exception_fp_ieee_div_zero 0
		.amdhsa_exception_fp_ieee_overflow 0
		.amdhsa_exception_fp_ieee_underflow 0
		.amdhsa_exception_fp_ieee_inexact 0
		.amdhsa_exception_int_div_zero 0
	.end_amdhsa_kernel
	.text
.Lfunc_end0:
	.size	fft_rtc_fwd_len224_factors_7_2_2_2_2_2_wgs_64_tpt_16_halfLds_sp_op_CI_CI_sbrr_dirReg, .Lfunc_end0-fft_rtc_fwd_len224_factors_7_2_2_2_2_2_wgs_64_tpt_16_halfLds_sp_op_CI_CI_sbrr_dirReg
                                        ; -- End function
	.section	.AMDGPU.csdata,"",@progbits
; Kernel info:
; codeLenInByte = 10304
; NumSgprs: 33
; NumVgprs: 82
; ScratchSize: 0
; MemoryBound: 0
; FloatMode: 240
; IeeeMode: 1
; LDSByteSize: 0 bytes/workgroup (compile time only)
; SGPRBlocks: 4
; VGPRBlocks: 10
; NumSGPRsForWavesPerEU: 33
; NumVGPRsForWavesPerEU: 82
; Occupancy: 10
; WaveLimiterHint : 1
; COMPUTE_PGM_RSRC2:SCRATCH_EN: 0
; COMPUTE_PGM_RSRC2:USER_SGPR: 6
; COMPUTE_PGM_RSRC2:TRAP_HANDLER: 0
; COMPUTE_PGM_RSRC2:TGID_X_EN: 1
; COMPUTE_PGM_RSRC2:TGID_Y_EN: 0
; COMPUTE_PGM_RSRC2:TGID_Z_EN: 0
; COMPUTE_PGM_RSRC2:TIDIG_COMP_CNT: 0
	.text
	.p2alignl 6, 3214868480
	.fill 48, 4, 3214868480
	.type	__hip_cuid_77a0fab78610dd78,@object ; @__hip_cuid_77a0fab78610dd78
	.section	.bss,"aw",@nobits
	.globl	__hip_cuid_77a0fab78610dd78
__hip_cuid_77a0fab78610dd78:
	.byte	0                               ; 0x0
	.size	__hip_cuid_77a0fab78610dd78, 1

	.ident	"AMD clang version 19.0.0git (https://github.com/RadeonOpenCompute/llvm-project roc-6.4.0 25133 c7fe45cf4b819c5991fe208aaa96edf142730f1d)"
	.section	".note.GNU-stack","",@progbits
	.addrsig
	.addrsig_sym __hip_cuid_77a0fab78610dd78
	.amdgpu_metadata
---
amdhsa.kernels:
  - .args:
      - .actual_access:  read_only
        .address_space:  global
        .offset:         0
        .size:           8
        .value_kind:     global_buffer
      - .offset:         8
        .size:           8
        .value_kind:     by_value
      - .actual_access:  read_only
        .address_space:  global
        .offset:         16
        .size:           8
        .value_kind:     global_buffer
      - .actual_access:  read_only
        .address_space:  global
        .offset:         24
        .size:           8
        .value_kind:     global_buffer
      - .actual_access:  read_only
        .address_space:  global
        .offset:         32
        .size:           8
        .value_kind:     global_buffer
      - .offset:         40
        .size:           8
        .value_kind:     by_value
      - .actual_access:  read_only
        .address_space:  global
        .offset:         48
        .size:           8
        .value_kind:     global_buffer
      - .actual_access:  read_only
        .address_space:  global
        .offset:         56
        .size:           8
        .value_kind:     global_buffer
      - .offset:         64
        .size:           4
        .value_kind:     by_value
      - .actual_access:  read_only
        .address_space:  global
        .offset:         72
        .size:           8
        .value_kind:     global_buffer
      - .actual_access:  read_only
        .address_space:  global
        .offset:         80
        .size:           8
        .value_kind:     global_buffer
      - .actual_access:  read_only
        .address_space:  global
        .offset:         88
        .size:           8
        .value_kind:     global_buffer
      - .actual_access:  write_only
        .address_space:  global
        .offset:         96
        .size:           8
        .value_kind:     global_buffer
    .group_segment_fixed_size: 0
    .kernarg_segment_align: 8
    .kernarg_segment_size: 104
    .language:       OpenCL C
    .language_version:
      - 2
      - 0
    .max_flat_workgroup_size: 64
    .name:           fft_rtc_fwd_len224_factors_7_2_2_2_2_2_wgs_64_tpt_16_halfLds_sp_op_CI_CI_sbrr_dirReg
    .private_segment_fixed_size: 0
    .sgpr_count:     33
    .sgpr_spill_count: 0
    .symbol:         fft_rtc_fwd_len224_factors_7_2_2_2_2_2_wgs_64_tpt_16_halfLds_sp_op_CI_CI_sbrr_dirReg.kd
    .uniform_work_group_size: 1
    .uses_dynamic_stack: false
    .vgpr_count:     82
    .vgpr_spill_count: 0
    .wavefront_size: 32
    .workgroup_processor_mode: 1
amdhsa.target:   amdgcn-amd-amdhsa--gfx1030
amdhsa.version:
  - 1
  - 2
...

	.end_amdgpu_metadata
